;; amdgpu-corpus repo=ROCm/rocFFT kind=compiled arch=gfx1201 opt=O3
	.text
	.amdgcn_target "amdgcn-amd-amdhsa--gfx1201"
	.amdhsa_code_object_version 6
	.protected	bluestein_single_back_len45_dim1_dp_op_CI_CI ; -- Begin function bluestein_single_back_len45_dim1_dp_op_CI_CI
	.globl	bluestein_single_back_len45_dim1_dp_op_CI_CI
	.p2align	8
	.type	bluestein_single_back_len45_dim1_dp_op_CI_CI,@function
bluestein_single_back_len45_dim1_dp_op_CI_CI: ; @bluestein_single_back_len45_dim1_dp_op_CI_CI
; %bb.0:
	s_load_b128 s[4:7], s[0:1], 0x28
	v_mul_u32_u24_e32 v1, 0x1112, v0
	v_mov_b32_e32 v37, 0
	s_mov_b32 s2, exec_lo
	s_delay_alu instid0(VALU_DEP_2) | instskip(NEXT) | instid1(VALU_DEP_1)
	v_lshrrev_b32_e32 v1, 16, v1
	v_lshl_add_u32 v36, ttmp9, 3, v1
	s_wait_kmcnt 0x0
	s_delay_alu instid0(VALU_DEP_1)
	v_cmpx_gt_u64_e64 s[4:5], v[36:37]
	s_cbranch_execz .LBB0_15
; %bb.1:
	v_mul_lo_u16 v2, v1, 15
	s_clause 0x1
	s_load_b64 s[12:13], s[0:1], 0x0
	s_load_b64 s[4:5], s[0:1], 0x38
	v_and_b32_e32 v1, 7, v1
	v_sub_nc_u16 v0, v0, v2
	s_delay_alu instid0(VALU_DEP_2) | instskip(NEXT) | instid1(VALU_DEP_2)
	v_mul_u32_u24_e32 v54, 45, v1
	v_and_b32_e32 v53, 0xffff, v0
	v_cmp_gt_u16_e32 vcc_lo, 9, v0
	s_delay_alu instid0(VALU_DEP_3) | instskip(NEXT) | instid1(VALU_DEP_3)
	v_lshlrev_b32_e32 v56, 4, v54
	v_lshlrev_b32_e32 v55, 4, v53
	s_and_saveexec_b32 s3, vcc_lo
	s_cbranch_execz .LBB0_3
; %bb.2:
	s_load_b64 s[8:9], s[0:1], 0x18
	s_wait_kmcnt 0x0
	s_load_b128 s[8:11], s[8:9], 0x0
	s_wait_kmcnt 0x0
	v_mad_co_u64_u32 v[0:1], null, s10, v36, 0
	v_mad_co_u64_u32 v[2:3], null, s8, v53, 0
	s_delay_alu instid0(VALU_DEP_1) | instskip(NEXT) | instid1(VALU_DEP_1)
	v_mad_co_u64_u32 v[4:5], null, s11, v36, v[1:2]
	v_mad_co_u64_u32 v[5:6], null, s9, v53, v[3:4]
	v_mov_b32_e32 v1, v4
	s_delay_alu instid0(VALU_DEP_1) | instskip(NEXT) | instid1(VALU_DEP_3)
	v_lshlrev_b64_e32 v[0:1], 4, v[0:1]
	v_mov_b32_e32 v3, v5
	s_delay_alu instid0(VALU_DEP_2) | instskip(NEXT) | instid1(VALU_DEP_2)
	v_add_co_u32 v0, s2, s6, v0
	v_lshlrev_b64_e32 v[2:3], 4, v[2:3]
	s_delay_alu instid0(VALU_DEP_4) | instskip(SKIP_1) | instid1(VALU_DEP_2)
	v_add_co_ci_u32_e64 v1, s2, s7, v1, s2
	s_mul_u64 s[6:7], s[8:9], 0x90
	v_add_co_u32 v8, s2, v0, v2
	s_wait_alu 0xf1ff
	s_delay_alu instid0(VALU_DEP_2)
	v_add_co_ci_u32_e64 v9, s2, v1, v3, s2
	s_clause 0x1
	global_load_b128 v[0:3], v55, s[12:13]
	global_load_b128 v[4:7], v55, s[12:13] offset:144
	s_wait_alu 0xfffe
	v_add_co_u32 v12, s2, v8, s6
	s_wait_alu 0xf1ff
	v_add_co_ci_u32_e64 v13, s2, s7, v9, s2
	s_delay_alu instid0(VALU_DEP_2) | instskip(SKIP_1) | instid1(VALU_DEP_2)
	v_add_co_u32 v16, s2, v12, s6
	s_wait_alu 0xf1ff
	v_add_co_ci_u32_e64 v17, s2, s7, v13, s2
	s_clause 0x1
	global_load_b128 v[8:11], v[8:9], off
	global_load_b128 v[12:15], v[12:13], off
	v_add_co_u32 v28, s2, v16, s6
	s_wait_alu 0xf1ff
	v_add_co_ci_u32_e64 v29, s2, s7, v17, s2
	global_load_b128 v[16:19], v[16:17], off
	v_add_co_u32 v37, s2, v28, s6
	s_wait_alu 0xf1ff
	v_add_co_ci_u32_e64 v38, s2, s7, v29, s2
	s_clause 0x1
	global_load_b128 v[20:23], v55, s[12:13] offset:288
	global_load_b128 v[24:27], v55, s[12:13] offset:432
	global_load_b128 v[28:31], v[28:29], off
	global_load_b128 v[32:35], v55, s[12:13] offset:576
	global_load_b128 v[37:40], v[37:38], off
	s_wait_loadcnt 0x7
	v_mul_f64_e32 v[41:42], v[10:11], v[2:3]
	v_mul_f64_e32 v[2:3], v[8:9], v[2:3]
	s_wait_loadcnt 0x6
	v_mul_f64_e32 v[43:44], v[14:15], v[6:7]
	v_mul_f64_e32 v[45:46], v[12:13], v[6:7]
	;; [unrolled: 3-line block ×5, first 2 shown]
	v_fma_f64 v[6:7], v[8:9], v[0:1], v[41:42]
	v_fma_f64 v[8:9], v[10:11], v[0:1], -v[2:3]
	v_fma_f64 v[0:1], v[12:13], v[4:5], v[43:44]
	v_fma_f64 v[2:3], v[14:15], v[4:5], -v[45:46]
	v_lshl_add_u32 v4, v53, 4, v56
	v_add_nc_u32_e32 v5, v56, v55
	v_fma_f64 v[10:11], v[16:17], v[20:21], v[47:48]
	v_fma_f64 v[12:13], v[18:19], v[20:21], -v[22:23]
	v_fma_f64 v[14:15], v[28:29], v[24:25], v[49:50]
	v_fma_f64 v[16:17], v[30:31], v[24:25], -v[26:27]
	v_fma_f64 v[18:19], v[37:38], v[32:33], v[51:52]
	v_fma_f64 v[20:21], v[39:40], v[32:33], -v[34:35]
	ds_store_b128 v4, v[6:9]
	ds_store_b128 v5, v[0:3] offset:144
	ds_store_b128 v5, v[10:13] offset:288
	;; [unrolled: 1-line block ×4, first 2 shown]
.LBB0_3:
	s_or_b32 exec_lo, exec_lo, s3
	s_clause 0x1
	s_load_b64 s[2:3], s[0:1], 0x20
	s_load_b64 s[6:7], s[0:1], 0x8
	global_wb scope:SCOPE_SE
	s_wait_dscnt 0x0
	s_wait_kmcnt 0x0
	s_barrier_signal -1
	s_barrier_wait -1
	global_inv scope:SCOPE_SE
                                        ; implicit-def: $vgpr8_vgpr9
                                        ; implicit-def: $vgpr12_vgpr13
                                        ; implicit-def: $vgpr16_vgpr17
                                        ; implicit-def: $vgpr20_vgpr21
                                        ; implicit-def: $vgpr24_vgpr25
	s_and_saveexec_b32 s0, vcc_lo
	s_cbranch_execz .LBB0_5
; %bb.4:
	v_lshl_add_u32 v0, v54, 4, v55
	ds_load_b128 v[8:11], v0
	ds_load_b128 v[12:15], v0 offset:144
	ds_load_b128 v[16:19], v0 offset:288
	;; [unrolled: 1-line block ×4, first 2 shown]
.LBB0_5:
	s_wait_alu 0xfffe
	s_or_b32 exec_lo, exec_lo, s0
	s_wait_dscnt 0x1
	v_add_f64_e32 v[0:1], v[16:17], v[20:21]
	s_wait_dscnt 0x0
	v_add_f64_e32 v[2:3], v[12:13], v[24:25]
	v_add_f64_e32 v[4:5], v[18:19], v[22:23]
	;; [unrolled: 1-line block ×3, first 2 shown]
	v_add_f64_e64 v[32:33], v[14:15], -v[26:27]
	v_add_f64_e64 v[39:40], v[18:19], -v[22:23]
	;; [unrolled: 1-line block ×4, first 2 shown]
	s_mov_b32 s0, 0x134454ff
	s_mov_b32 s1, 0x3fee6f0e
	;; [unrolled: 1-line block ×3, first 2 shown]
	s_wait_alu 0xfffe
	s_mov_b32 s8, s0
	v_add_f64_e64 v[49:50], v[14:15], -v[18:19]
	v_add_f64_e64 v[51:52], v[26:27], -v[22:23]
	;; [unrolled: 1-line block ×4, first 2 shown]
	s_mov_b32 s11, 0xbfe2cf23
	global_wb scope:SCOPE_SE
	s_barrier_signal -1
	s_barrier_wait -1
	global_inv scope:SCOPE_SE
	v_fma_f64 v[28:29], v[0:1], -0.5, v[8:9]
	v_fma_f64 v[30:31], v[2:3], -0.5, v[8:9]
	;; [unrolled: 1-line block ×4, first 2 shown]
	v_add_f64_e64 v[0:1], v[12:13], -v[16:17]
	v_add_f64_e64 v[2:3], v[24:25], -v[20:21]
	;; [unrolled: 1-line block ×4, first 2 shown]
	v_add_f64_e32 v[49:50], v[49:50], v[51:52]
	v_add_f64_e32 v[51:52], v[57:58], v[59:60]
	s_wait_alu 0xfffe
	v_fma_f64 v[61:62], v[32:33], s[8:9], v[28:29]
	v_fma_f64 v[63:64], v[39:40], s[0:1], v[30:31]
	;; [unrolled: 1-line block ×4, first 2 shown]
	s_mov_b32 s8, 0x4755a5e
	s_mov_b32 s9, 0x3fe2cf23
	s_wait_alu 0xfffe
	s_mov_b32 s10, s8
	v_add_f64_e32 v[45:46], v[0:1], v[2:3]
	v_add_f64_e32 v[47:48], v[4:5], v[6:7]
	s_wait_alu 0xfffe
	v_fma_f64 v[0:1], v[39:40], s[10:11], v[61:62]
	v_fma_f64 v[2:3], v[32:33], s[10:11], v[63:64]
	;; [unrolled: 1-line block ×4, first 2 shown]
	s_mov_b32 s10, 0x372fe950
	s_mov_b32 s11, 0x3fd3c6ef
	s_wait_alu 0xfffe
	s_delay_alu instid0(VALU_DEP_4) | instskip(NEXT) | instid1(VALU_DEP_4)
	v_fma_f64 v[0:1], v[45:46], s[10:11], v[0:1]
	v_fma_f64 v[4:5], v[47:48], s[10:11], v[2:3]
	s_delay_alu instid0(VALU_DEP_4) | instskip(NEXT) | instid1(VALU_DEP_4)
	v_fma_f64 v[2:3], v[49:50], s[10:11], v[6:7]
	v_fma_f64 v[6:7], v[51:52], s[10:11], v[57:58]
	v_mul_lo_u16 v57, v53, 5
	s_and_saveexec_b32 s14, vcc_lo
	s_cbranch_execz .LBB0_7
; %bb.6:
	v_mul_f64_e32 v[58:59], s[0:1], v[41:42]
	v_mul_f64_e32 v[60:61], s[0:1], v[34:35]
	v_add_f64_e32 v[10:11], v[10:11], v[14:15]
	v_add_f64_e32 v[8:9], v[8:9], v[12:13]
	v_mul_f64_e32 v[12:13], s[0:1], v[32:33]
	v_mul_f64_e32 v[14:15], s[0:1], v[39:40]
	;; [unrolled: 1-line block ×6, first 2 shown]
	v_add_f64_e32 v[43:44], v[58:59], v[43:44]
	v_add_f64_e64 v[37:38], v[37:38], -v[60:61]
	v_add_f64_e32 v[10:11], v[10:11], v[18:19]
	v_add_f64_e32 v[8:9], v[8:9], v[16:17]
	;; [unrolled: 1-line block ×3, first 2 shown]
	v_add_f64_e64 v[14:15], v[30:31], -v[14:15]
	v_mul_f64_e32 v[16:17], s[10:11], v[49:50]
	v_mul_f64_e32 v[18:19], s[10:11], v[51:52]
	;; [unrolled: 1-line block ×4, first 2 shown]
	v_add_f64_e64 v[34:35], v[43:44], -v[34:35]
	v_add_f64_e64 v[37:38], v[37:38], -v[41:42]
	v_add_f64_e32 v[22:23], v[10:11], v[22:23]
	v_add_f64_e32 v[8:9], v[8:9], v[20:21]
	;; [unrolled: 1-line block ×10, first 2 shown]
	v_and_b32_e32 v20, 0xffff, v57
	s_delay_alu instid0(VALU_DEP_1)
	v_add_lshl_u32 v20, v54, v20, 4
	ds_store_b128 v20, v[16:19]
	ds_store_b128 v20, v[12:15] offset:16
	ds_store_b128 v20, v[8:11] offset:32
	;; [unrolled: 1-line block ×4, first 2 shown]
.LBB0_7:
	s_or_b32 exec_lo, exec_lo, s14
	v_and_b32_e32 v8, 0xff, v53
	s_load_b128 s[0:3], s[2:3], 0x0
	global_wb scope:SCOPE_SE
	s_wait_dscnt 0x0
	s_wait_kmcnt 0x0
	s_barrier_signal -1
	s_barrier_wait -1
	v_mul_lo_u16 v8, 0xcd, v8
	global_inv scope:SCOPE_SE
	v_add_lshl_u32 v38, v54, v53, 4
	s_mov_b32 s8, 0xe8584caa
	s_mov_b32 s9, 0x3febb67a
	v_lshrrev_b16 v37, 10, v8
	s_mov_b32 s11, 0xbfebb67a
	s_wait_alu 0xfffe
	s_mov_b32 s10, s8
	s_delay_alu instid0(VALU_DEP_1) | instskip(NEXT) | instid1(VALU_DEP_1)
	v_mul_lo_u16 v8, v37, 5
	v_sub_nc_u16 v41, v53, v8
	s_delay_alu instid0(VALU_DEP_1) | instskip(NEXT) | instid1(VALU_DEP_1)
	v_lshlrev_b16 v8, 1, v41
	v_and_b32_e32 v8, 0xfe, v8
	s_delay_alu instid0(VALU_DEP_1)
	v_lshlrev_b32_e32 v8, 4, v8
	s_clause 0x1
	global_load_b128 v[12:15], v8, s[6:7]
	global_load_b128 v[8:11], v8, s[6:7] offset:16
	ds_load_b128 v[16:19], v38 offset:240
	ds_load_b128 v[20:23], v38 offset:480
	s_wait_loadcnt_dscnt 0x101
	v_mul_f64_e32 v[24:25], v[18:19], v[14:15]
	s_wait_loadcnt_dscnt 0x0
	v_mul_f64_e32 v[26:27], v[22:23], v[10:11]
	v_mul_f64_e32 v[28:29], v[16:17], v[14:15]
	;; [unrolled: 1-line block ×3, first 2 shown]
	s_delay_alu instid0(VALU_DEP_4) | instskip(NEXT) | instid1(VALU_DEP_4)
	v_fma_f64 v[24:25], v[16:17], v[12:13], -v[24:25]
	v_fma_f64 v[20:21], v[20:21], v[8:9], -v[26:27]
	s_delay_alu instid0(VALU_DEP_4) | instskip(NEXT) | instid1(VALU_DEP_4)
	v_fma_f64 v[26:27], v[18:19], v[12:13], v[28:29]
	v_fma_f64 v[22:23], v[22:23], v[8:9], v[30:31]
	ds_load_b128 v[16:19], v38
	global_wb scope:SCOPE_SE
	s_wait_dscnt 0x0
	s_barrier_signal -1
	s_barrier_wait -1
	global_inv scope:SCOPE_SE
	v_add_f64_e32 v[32:33], v[16:17], v[24:25]
	v_add_f64_e32 v[28:29], v[24:25], v[20:21]
	v_add_f64_e64 v[39:40], v[24:25], -v[20:21]
	v_add_f64_e32 v[30:31], v[26:27], v[22:23]
	v_add_f64_e64 v[34:35], v[26:27], -v[22:23]
	v_add_f64_e32 v[26:27], v[18:19], v[26:27]
	v_fma_f64 v[28:29], v[28:29], -0.5, v[16:17]
	v_add_f64_e32 v[16:17], v[32:33], v[20:21]
	v_fma_f64 v[30:31], v[30:31], -0.5, v[18:19]
	s_delay_alu instid0(VALU_DEP_4) | instskip(NEXT) | instid1(VALU_DEP_4)
	v_add_f64_e32 v[18:19], v[26:27], v[22:23]
	v_fma_f64 v[20:21], v[34:35], s[8:9], v[28:29]
	s_wait_alu 0xfffe
	v_fma_f64 v[24:25], v[34:35], s[10:11], v[28:29]
	s_delay_alu instid0(VALU_DEP_4) | instskip(SKIP_4) | instid1(VALU_DEP_3)
	v_fma_f64 v[22:23], v[39:40], s[10:11], v[30:31]
	v_fma_f64 v[26:27], v[39:40], s[8:9], v[30:31]
	v_mad_u16 v28, v37, 15, v41
	v_lshlrev_b32_e32 v29, 5, v53
	v_lshl_add_u32 v37, v53, 4, v56
	v_and_b32_e32 v28, 0xff, v28
	s_delay_alu instid0(VALU_DEP_1)
	v_add_lshl_u32 v39, v54, v28, 4
	ds_store_b128 v39, v[16:19]
	ds_store_b128 v39, v[20:23] offset:80
	ds_store_b128 v39, v[24:27] offset:160
	global_wb scope:SCOPE_SE
	s_wait_dscnt 0x0
	s_barrier_signal -1
	s_barrier_wait -1
	global_inv scope:SCOPE_SE
	s_clause 0x1
	global_load_b128 v[20:23], v29, s[6:7] offset:160
	global_load_b128 v[16:19], v29, s[6:7] offset:176
	ds_load_b128 v[24:27], v38 offset:240
	ds_load_b128 v[28:31], v38 offset:480
	s_wait_loadcnt_dscnt 0x101
	v_mul_f64_e32 v[32:33], v[26:27], v[22:23]
	s_wait_loadcnt_dscnt 0x0
	v_mul_f64_e32 v[34:35], v[30:31], v[18:19]
	v_mul_f64_e32 v[40:41], v[24:25], v[22:23]
	v_mul_f64_e32 v[42:43], v[28:29], v[18:19]
	s_delay_alu instid0(VALU_DEP_4) | instskip(NEXT) | instid1(VALU_DEP_4)
	v_fma_f64 v[32:33], v[24:25], v[20:21], -v[32:33]
	v_fma_f64 v[28:29], v[28:29], v[16:17], -v[34:35]
	s_delay_alu instid0(VALU_DEP_4) | instskip(NEXT) | instid1(VALU_DEP_4)
	v_fma_f64 v[34:35], v[26:27], v[20:21], v[40:41]
	v_fma_f64 v[30:31], v[30:31], v[16:17], v[42:43]
	ds_load_b128 v[24:27], v38
	s_wait_dscnt 0x0
	v_add_f64_e32 v[44:45], v[24:25], v[32:33]
	v_add_f64_e32 v[40:41], v[32:33], v[28:29]
	v_add_f64_e64 v[48:49], v[32:33], -v[28:29]
	v_add_f64_e32 v[42:43], v[34:35], v[30:31]
	v_add_f64_e64 v[46:47], v[34:35], -v[30:31]
	v_add_f64_e32 v[34:35], v[26:27], v[34:35]
	v_fma_f64 v[40:41], v[40:41], -0.5, v[24:25]
	v_add_f64_e32 v[24:25], v[44:45], v[28:29]
	v_fma_f64 v[42:43], v[42:43], -0.5, v[26:27]
	s_delay_alu instid0(VALU_DEP_4) | instskip(NEXT) | instid1(VALU_DEP_4)
	v_add_f64_e32 v[26:27], v[34:35], v[30:31]
	v_fma_f64 v[28:29], v[46:47], s[8:9], v[40:41]
	v_fma_f64 v[32:33], v[46:47], s[10:11], v[40:41]
	s_delay_alu instid0(VALU_DEP_4)
	v_fma_f64 v[30:31], v[48:49], s[10:11], v[42:43]
	v_fma_f64 v[34:35], v[48:49], s[8:9], v[42:43]
	ds_store_b128 v37, v[24:27]
	ds_store_b128 v37, v[28:31] offset:240
	ds_store_b128 v37, v[32:35] offset:480
	global_wb scope:SCOPE_SE
	s_wait_dscnt 0x0
	s_barrier_signal -1
	s_barrier_wait -1
	global_inv scope:SCOPE_SE
	s_and_saveexec_b32 s8, vcc_lo
	s_cbranch_execz .LBB0_9
; %bb.8:
	s_add_nc_u64 s[6:7], s[12:13], 0x2d0
	s_clause 0x4
	global_load_b128 v[40:43], v55, s[12:13] offset:720
	global_load_b128 v[44:47], v55, s[6:7] offset:144
	;; [unrolled: 1-line block ×5, first 2 shown]
	ds_load_b128 v[66:69], v37
	ds_load_b128 v[70:73], v37 offset:144
	ds_load_b128 v[74:77], v37 offset:288
	;; [unrolled: 1-line block ×4, first 2 shown]
	s_wait_loadcnt_dscnt 0x404
	v_mul_f64_e32 v[86:87], v[68:69], v[42:43]
	v_mul_f64_e32 v[42:43], v[66:67], v[42:43]
	s_wait_loadcnt_dscnt 0x303
	v_mul_f64_e32 v[88:89], v[72:73], v[46:47]
	v_mul_f64_e32 v[46:47], v[70:71], v[46:47]
	;; [unrolled: 3-line block ×5, first 2 shown]
	v_fma_f64 v[64:65], v[66:67], v[40:41], -v[86:87]
	v_fma_f64 v[66:67], v[68:69], v[40:41], v[42:43]
	v_fma_f64 v[40:41], v[70:71], v[44:45], -v[88:89]
	v_fma_f64 v[42:43], v[72:73], v[44:45], v[46:47]
	;; [unrolled: 2-line block ×5, first 2 shown]
	ds_store_b128 v37, v[64:67]
	ds_store_b128 v37, v[40:43] offset:144
	ds_store_b128 v37, v[44:47] offset:288
	;; [unrolled: 1-line block ×4, first 2 shown]
.LBB0_9:
	s_wait_alu 0xfffe
	s_or_b32 exec_lo, exec_lo, s8
	global_wb scope:SCOPE_SE
	s_wait_dscnt 0x0
	s_barrier_signal -1
	s_barrier_wait -1
	global_inv scope:SCOPE_SE
	s_and_saveexec_b32 s6, vcc_lo
	s_cbranch_execz .LBB0_11
; %bb.10:
	ds_load_b128 v[24:27], v37
	ds_load_b128 v[28:31], v37 offset:144
	ds_load_b128 v[32:35], v37 offset:288
	;; [unrolled: 1-line block ×4, first 2 shown]
.LBB0_11:
	s_wait_alu 0xfffe
	s_or_b32 exec_lo, exec_lo, s6
	global_wb scope:SCOPE_SE
	s_wait_dscnt 0x0
	s_barrier_signal -1
	s_barrier_wait -1
	global_inv scope:SCOPE_SE
	s_and_saveexec_b32 s6, vcc_lo
	s_cbranch_execz .LBB0_13
; %bb.12:
	v_add_f64_e32 v[40:41], v[30:31], v[2:3]
	v_add_f64_e32 v[42:43], v[34:35], v[6:7]
	;; [unrolled: 1-line block ×6, first 2 shown]
	v_add_f64_e64 v[48:49], v[32:33], -v[4:5]
	v_add_f64_e64 v[50:51], v[28:29], -v[0:1]
	;; [unrolled: 1-line block ×3, first 2 shown]
	s_mov_b32 s8, 0x134454ff
	s_mov_b32 s9, 0x3fee6f0e
	;; [unrolled: 1-line block ×3, first 2 shown]
	s_wait_alu 0xfffe
	s_mov_b32 s10, s8
	v_add_f64_e64 v[68:69], v[32:33], -v[28:29]
	v_add_f64_e64 v[28:29], v[28:29], -v[32:33]
	;; [unrolled: 1-line block ×6, first 2 shown]
	v_fma_f64 v[40:41], v[40:41], -0.5, v[26:27]
	v_fma_f64 v[26:27], v[42:43], -0.5, v[26:27]
	v_fma_f64 v[44:45], v[44:45], -0.5, v[24:25]
	v_add_f64_e64 v[42:43], v[34:35], -v[6:7]
	v_fma_f64 v[24:25], v[46:47], -0.5, v[24:25]
	v_add_f64_e64 v[46:47], v[34:35], -v[30:31]
	v_add_f64_e64 v[30:31], v[30:31], -v[34:35]
	v_add_f64_e32 v[34:35], v[58:59], v[34:35]
	v_add_f64_e32 v[32:33], v[60:61], v[32:33]
	;; [unrolled: 1-line block ×3, first 2 shown]
	v_fma_f64 v[58:59], v[48:49], s[8:9], v[40:41]
	s_wait_alu 0xfffe
	v_fma_f64 v[40:41], v[48:49], s[10:11], v[40:41]
	v_fma_f64 v[60:61], v[50:51], s[10:11], v[26:27]
	;; [unrolled: 1-line block ×7, first 2 shown]
	s_mov_b32 s8, 0x4755a5e
	s_mov_b32 s9, 0xbfe2cf23
	;; [unrolled: 1-line block ×3, first 2 shown]
	s_wait_alu 0xfffe
	s_mov_b32 s10, s8
	v_add_f64_e32 v[6:7], v[34:35], v[6:7]
	v_add_f64_e32 v[4:5], v[32:33], v[4:5]
	;; [unrolled: 1-line block ×5, first 2 shown]
	v_fma_f64 v[30:31], v[50:51], s[8:9], v[58:59]
	s_wait_alu 0xfffe
	v_fma_f64 v[32:33], v[50:51], s[10:11], v[40:41]
	v_fma_f64 v[34:35], v[48:49], s[8:9], v[60:61]
	;; [unrolled: 1-line block ×7, first 2 shown]
	s_mov_b32 s8, 0x372fe950
	s_mov_b32 s9, 0x3fd3c6ef
	v_add_f64_e32 v[2:3], v[6:7], v[2:3]
	v_add_f64_e32 v[0:1], v[4:5], v[0:1]
	s_wait_alu 0xfffe
	v_fma_f64 v[6:7], v[46:47], s[8:9], v[30:31]
	v_fma_f64 v[26:27], v[46:47], s[8:9], v[32:33]
	v_fma_f64 v[30:31], v[64:65], s[8:9], v[34:35]
	v_fma_f64 v[34:35], v[64:65], s[8:9], v[40:41]
	v_fma_f64 v[32:33], v[28:29], s[8:9], v[48:49]
	v_fma_f64 v[24:25], v[66:67], s[8:9], v[50:51]
	v_fma_f64 v[4:5], v[66:67], s[8:9], v[58:59]
	v_fma_f64 v[28:29], v[28:29], s[8:9], v[42:43]
	v_and_b32_e32 v40, 0xffff, v57
	s_delay_alu instid0(VALU_DEP_1)
	v_lshl_add_u32 v40, v40, 4, v56
	ds_store_b128 v40, v[0:3]
	ds_store_b128 v40, v[32:35] offset:16
	ds_store_b128 v40, v[24:27] offset:32
	;; [unrolled: 1-line block ×4, first 2 shown]
.LBB0_13:
	s_wait_alu 0xfffe
	s_or_b32 exec_lo, exec_lo, s6
	global_wb scope:SCOPE_SE
	s_wait_dscnt 0x0
	s_barrier_signal -1
	s_barrier_wait -1
	global_inv scope:SCOPE_SE
	ds_load_b128 v[0:3], v38 offset:240
	ds_load_b128 v[4:7], v38 offset:480
	s_mov_b32 s6, 0xe8584caa
	s_mov_b32 s7, 0xbfebb67a
	;; [unrolled: 1-line block ×3, first 2 shown]
	s_wait_alu 0xfffe
	s_mov_b32 s8, s6
	s_wait_dscnt 0x1
	v_mul_f64_e32 v[24:25], v[14:15], v[2:3]
	s_wait_dscnt 0x0
	v_mul_f64_e32 v[26:27], v[10:11], v[6:7]
	v_mul_f64_e32 v[14:15], v[14:15], v[0:1]
	;; [unrolled: 1-line block ×3, first 2 shown]
	s_delay_alu instid0(VALU_DEP_4) | instskip(NEXT) | instid1(VALU_DEP_4)
	v_fma_f64 v[24:25], v[12:13], v[0:1], v[24:25]
	v_fma_f64 v[4:5], v[8:9], v[4:5], v[26:27]
	s_delay_alu instid0(VALU_DEP_4) | instskip(NEXT) | instid1(VALU_DEP_4)
	v_fma_f64 v[12:13], v[12:13], v[2:3], -v[14:15]
	v_fma_f64 v[6:7], v[8:9], v[6:7], -v[10:11]
	ds_load_b128 v[0:3], v38
	global_wb scope:SCOPE_SE
	s_wait_dscnt 0x0
	s_barrier_signal -1
	s_barrier_wait -1
	global_inv scope:SCOPE_SE
	v_add_f64_e32 v[14:15], v[0:1], v[24:25]
	v_add_f64_e32 v[8:9], v[24:25], v[4:5]
	v_add_f64_e64 v[24:25], v[24:25], -v[4:5]
	v_add_f64_e32 v[10:11], v[12:13], v[6:7]
	v_add_f64_e64 v[26:27], v[12:13], -v[6:7]
	v_add_f64_e32 v[12:13], v[2:3], v[12:13]
	v_fma_f64 v[8:9], v[8:9], -0.5, v[0:1]
	v_add_f64_e32 v[0:1], v[14:15], v[4:5]
	v_fma_f64 v[10:11], v[10:11], -0.5, v[2:3]
	s_delay_alu instid0(VALU_DEP_4) | instskip(NEXT) | instid1(VALU_DEP_4)
	v_add_f64_e32 v[2:3], v[12:13], v[6:7]
	v_fma_f64 v[4:5], v[26:27], s[6:7], v[8:9]
	s_wait_alu 0xfffe
	v_fma_f64 v[8:9], v[26:27], s[8:9], v[8:9]
	s_delay_alu instid0(VALU_DEP_4)
	v_fma_f64 v[6:7], v[24:25], s[8:9], v[10:11]
	v_fma_f64 v[10:11], v[24:25], s[6:7], v[10:11]
	ds_store_b128 v39, v[0:3]
	ds_store_b128 v39, v[4:7] offset:80
	ds_store_b128 v39, v[8:11] offset:160
	global_wb scope:SCOPE_SE
	s_wait_dscnt 0x0
	s_barrier_signal -1
	s_barrier_wait -1
	global_inv scope:SCOPE_SE
	ds_load_b128 v[0:3], v38 offset:240
	ds_load_b128 v[4:7], v38 offset:480
	s_wait_dscnt 0x1
	v_mul_f64_e32 v[8:9], v[22:23], v[2:3]
	s_wait_dscnt 0x0
	v_mul_f64_e32 v[10:11], v[18:19], v[6:7]
	v_mul_f64_e32 v[12:13], v[22:23], v[0:1]
	;; [unrolled: 1-line block ×3, first 2 shown]
	s_delay_alu instid0(VALU_DEP_4) | instskip(NEXT) | instid1(VALU_DEP_4)
	v_fma_f64 v[8:9], v[20:21], v[0:1], v[8:9]
	v_fma_f64 v[4:5], v[16:17], v[4:5], v[10:11]
	s_delay_alu instid0(VALU_DEP_4) | instskip(NEXT) | instid1(VALU_DEP_4)
	v_fma_f64 v[10:11], v[20:21], v[2:3], -v[12:13]
	v_fma_f64 v[6:7], v[16:17], v[6:7], -v[14:15]
	ds_load_b128 v[0:3], v38
	s_wait_dscnt 0x0
	v_add_f64_e32 v[16:17], v[0:1], v[8:9]
	v_add_f64_e32 v[12:13], v[8:9], v[4:5]
	v_add_f64_e64 v[20:21], v[8:9], -v[4:5]
	v_add_f64_e32 v[14:15], v[10:11], v[6:7]
	v_add_f64_e64 v[18:19], v[10:11], -v[6:7]
	v_add_f64_e32 v[10:11], v[2:3], v[10:11]
	v_fma_f64 v[12:13], v[12:13], -0.5, v[0:1]
	v_add_f64_e32 v[0:1], v[16:17], v[4:5]
	v_fma_f64 v[14:15], v[14:15], -0.5, v[2:3]
	s_delay_alu instid0(VALU_DEP_4) | instskip(NEXT) | instid1(VALU_DEP_4)
	v_add_f64_e32 v[2:3], v[10:11], v[6:7]
	v_fma_f64 v[4:5], v[18:19], s[6:7], v[12:13]
	v_fma_f64 v[8:9], v[18:19], s[8:9], v[12:13]
	s_delay_alu instid0(VALU_DEP_4)
	v_fma_f64 v[6:7], v[20:21], s[8:9], v[14:15]
	v_fma_f64 v[10:11], v[20:21], s[6:7], v[14:15]
	ds_store_b128 v37, v[0:3]
	ds_store_b128 v37, v[4:7] offset:240
	ds_store_b128 v37, v[8:11] offset:480
	global_wb scope:SCOPE_SE
	s_wait_dscnt 0x0
	s_barrier_signal -1
	s_barrier_wait -1
	global_inv scope:SCOPE_SE
	s_and_b32 exec_lo, exec_lo, vcc_lo
	s_cbranch_execz .LBB0_15
; %bb.14:
	s_clause 0x4
	global_load_b128 v[0:3], v55, s[12:13]
	global_load_b128 v[4:7], v55, s[12:13] offset:144
	global_load_b128 v[8:11], v55, s[12:13] offset:288
	;; [unrolled: 1-line block ×4, first 2 shown]
	v_lshl_add_u32 v38, v54, 4, v55
	ds_load_b128 v[20:23], v37
	ds_load_b128 v[24:27], v38 offset:144
	ds_load_b128 v[28:31], v38 offset:288
	;; [unrolled: 1-line block ×4, first 2 shown]
	s_wait_loadcnt_dscnt 0x404
	v_mul_f64_e32 v[41:42], v[22:23], v[2:3]
	v_mul_f64_e32 v[2:3], v[20:21], v[2:3]
	s_wait_loadcnt_dscnt 0x303
	v_mul_f64_e32 v[43:44], v[26:27], v[6:7]
	v_mul_f64_e32 v[6:7], v[24:25], v[6:7]
	;; [unrolled: 3-line block ×5, first 2 shown]
	v_fma_f64 v[20:21], v[20:21], v[0:1], v[41:42]
	v_fma_f64 v[2:3], v[0:1], v[22:23], -v[2:3]
	v_fma_f64 v[22:23], v[24:25], v[4:5], v[43:44]
	v_fma_f64 v[6:7], v[4:5], v[26:27], -v[6:7]
	;; [unrolled: 2-line block ×5, first 2 shown]
	v_mad_co_u64_u32 v[30:31], null, s2, v36, 0
	v_mad_co_u64_u32 v[32:33], null, s0, v53, 0
	s_delay_alu instid0(VALU_DEP_1) | instskip(NEXT) | instid1(VALU_DEP_1)
	v_dual_mov_b32 v0, v31 :: v_dual_mov_b32 v1, v33
	v_mad_co_u64_u32 v[4:5], null, s3, v36, v[0:1]
	s_mov_b32 s2, 0x16c16c17
	s_mov_b32 s3, 0x3f96c16c
	s_delay_alu instid0(VALU_DEP_1)
	v_mov_b32_e32 v31, v4
	v_mad_co_u64_u32 v[0:1], null, s1, v53, v[1:2]
	s_wait_alu 0xfffe
	v_mul_f64_e32 v[2:3], s[2:3], v[2:3]
	v_mul_f64_e32 v[4:5], s[2:3], v[22:23]
	v_mul_f64_e32 v[6:7], s[2:3], v[6:7]
	v_mul_f64_e32 v[8:9], s[2:3], v[24:25]
	v_mul_f64_e32 v[10:11], s[2:3], v[10:11]
	v_mul_f64_e32 v[12:13], s[2:3], v[26:27]
	v_mov_b32_e32 v33, v0
	v_mul_f64_e32 v[0:1], s[2:3], v[20:21]
	v_mul_f64_e32 v[14:15], s[2:3], v[14:15]
	;; [unrolled: 1-line block ×4, first 2 shown]
	v_lshlrev_b64_e32 v[20:21], 4, v[30:31]
	v_lshlrev_b64_e32 v[22:23], 4, v[32:33]
	s_mul_u64 s[0:1], s[0:1], 0x90
	s_delay_alu instid0(VALU_DEP_2) | instskip(NEXT) | instid1(VALU_DEP_3)
	v_add_co_u32 v20, vcc_lo, s4, v20
	v_add_co_ci_u32_e32 v21, vcc_lo, s5, v21, vcc_lo
	s_delay_alu instid0(VALU_DEP_2) | instskip(SKIP_1) | instid1(VALU_DEP_2)
	v_add_co_u32 v20, vcc_lo, v20, v22
	s_wait_alu 0xfffd
	v_add_co_ci_u32_e32 v21, vcc_lo, v21, v23, vcc_lo
	s_wait_alu 0xfffe
	s_delay_alu instid0(VALU_DEP_2) | instskip(SKIP_1) | instid1(VALU_DEP_2)
	v_add_co_u32 v22, vcc_lo, v20, s0
	s_wait_alu 0xfffd
	v_add_co_ci_u32_e32 v23, vcc_lo, s1, v21, vcc_lo
	s_delay_alu instid0(VALU_DEP_2) | instskip(SKIP_1) | instid1(VALU_DEP_2)
	v_add_co_u32 v24, vcc_lo, v22, s0
	s_wait_alu 0xfffd
	v_add_co_ci_u32_e32 v25, vcc_lo, s1, v23, vcc_lo
	;; [unrolled: 4-line block ×4, first 2 shown]
	s_clause 0x4
	global_store_b128 v[20:21], v[0:3], off
	global_store_b128 v[22:23], v[4:7], off
	;; [unrolled: 1-line block ×5, first 2 shown]
.LBB0_15:
	s_nop 0
	s_sendmsg sendmsg(MSG_DEALLOC_VGPRS)
	s_endpgm
	.section	.rodata,"a",@progbits
	.p2align	6, 0x0
	.amdhsa_kernel bluestein_single_back_len45_dim1_dp_op_CI_CI
		.amdhsa_group_segment_fixed_size 5760
		.amdhsa_private_segment_fixed_size 0
		.amdhsa_kernarg_size 104
		.amdhsa_user_sgpr_count 2
		.amdhsa_user_sgpr_dispatch_ptr 0
		.amdhsa_user_sgpr_queue_ptr 0
		.amdhsa_user_sgpr_kernarg_segment_ptr 1
		.amdhsa_user_sgpr_dispatch_id 0
		.amdhsa_user_sgpr_private_segment_size 0
		.amdhsa_wavefront_size32 1
		.amdhsa_uses_dynamic_stack 0
		.amdhsa_enable_private_segment 0
		.amdhsa_system_sgpr_workgroup_id_x 1
		.amdhsa_system_sgpr_workgroup_id_y 0
		.amdhsa_system_sgpr_workgroup_id_z 0
		.amdhsa_system_sgpr_workgroup_info 0
		.amdhsa_system_vgpr_workitem_id 0
		.amdhsa_next_free_vgpr 98
		.amdhsa_next_free_sgpr 15
		.amdhsa_reserve_vcc 1
		.amdhsa_float_round_mode_32 0
		.amdhsa_float_round_mode_16_64 0
		.amdhsa_float_denorm_mode_32 3
		.amdhsa_float_denorm_mode_16_64 3
		.amdhsa_fp16_overflow 0
		.amdhsa_workgroup_processor_mode 1
		.amdhsa_memory_ordered 1
		.amdhsa_forward_progress 0
		.amdhsa_round_robin_scheduling 0
		.amdhsa_exception_fp_ieee_invalid_op 0
		.amdhsa_exception_fp_denorm_src 0
		.amdhsa_exception_fp_ieee_div_zero 0
		.amdhsa_exception_fp_ieee_overflow 0
		.amdhsa_exception_fp_ieee_underflow 0
		.amdhsa_exception_fp_ieee_inexact 0
		.amdhsa_exception_int_div_zero 0
	.end_amdhsa_kernel
	.text
.Lfunc_end0:
	.size	bluestein_single_back_len45_dim1_dp_op_CI_CI, .Lfunc_end0-bluestein_single_back_len45_dim1_dp_op_CI_CI
                                        ; -- End function
	.section	.AMDGPU.csdata,"",@progbits
; Kernel info:
; codeLenInByte = 4404
; NumSgprs: 17
; NumVgprs: 98
; ScratchSize: 0
; MemoryBound: 0
; FloatMode: 240
; IeeeMode: 1
; LDSByteSize: 5760 bytes/workgroup (compile time only)
; SGPRBlocks: 2
; VGPRBlocks: 12
; NumSGPRsForWavesPerEU: 17
; NumVGPRsForWavesPerEU: 98
; Occupancy: 12
; WaveLimiterHint : 1
; COMPUTE_PGM_RSRC2:SCRATCH_EN: 0
; COMPUTE_PGM_RSRC2:USER_SGPR: 2
; COMPUTE_PGM_RSRC2:TRAP_HANDLER: 0
; COMPUTE_PGM_RSRC2:TGID_X_EN: 1
; COMPUTE_PGM_RSRC2:TGID_Y_EN: 0
; COMPUTE_PGM_RSRC2:TGID_Z_EN: 0
; COMPUTE_PGM_RSRC2:TIDIG_COMP_CNT: 0
	.text
	.p2alignl 7, 3214868480
	.fill 96, 4, 3214868480
	.type	__hip_cuid_890fa4cec99d5dec,@object ; @__hip_cuid_890fa4cec99d5dec
	.section	.bss,"aw",@nobits
	.globl	__hip_cuid_890fa4cec99d5dec
__hip_cuid_890fa4cec99d5dec:
	.byte	0                               ; 0x0
	.size	__hip_cuid_890fa4cec99d5dec, 1

	.ident	"AMD clang version 19.0.0git (https://github.com/RadeonOpenCompute/llvm-project roc-6.4.0 25133 c7fe45cf4b819c5991fe208aaa96edf142730f1d)"
	.section	".note.GNU-stack","",@progbits
	.addrsig
	.addrsig_sym __hip_cuid_890fa4cec99d5dec
	.amdgpu_metadata
---
amdhsa.kernels:
  - .args:
      - .actual_access:  read_only
        .address_space:  global
        .offset:         0
        .size:           8
        .value_kind:     global_buffer
      - .actual_access:  read_only
        .address_space:  global
        .offset:         8
        .size:           8
        .value_kind:     global_buffer
      - .actual_access:  read_only
        .address_space:  global
        .offset:         16
        .size:           8
        .value_kind:     global_buffer
      - .actual_access:  read_only
        .address_space:  global
        .offset:         24
        .size:           8
        .value_kind:     global_buffer
      - .actual_access:  read_only
        .address_space:  global
        .offset:         32
        .size:           8
        .value_kind:     global_buffer
      - .offset:         40
        .size:           8
        .value_kind:     by_value
      - .address_space:  global
        .offset:         48
        .size:           8
        .value_kind:     global_buffer
      - .address_space:  global
        .offset:         56
        .size:           8
        .value_kind:     global_buffer
      - .address_space:  global
        .offset:         64
        .size:           8
        .value_kind:     global_buffer
      - .address_space:  global
        .offset:         72
        .size:           8
        .value_kind:     global_buffer
      - .offset:         80
        .size:           4
        .value_kind:     by_value
      - .address_space:  global
        .offset:         88
        .size:           8
        .value_kind:     global_buffer
      - .address_space:  global
        .offset:         96
        .size:           8
        .value_kind:     global_buffer
    .group_segment_fixed_size: 5760
    .kernarg_segment_align: 8
    .kernarg_segment_size: 104
    .language:       OpenCL C
    .language_version:
      - 2
      - 0
    .max_flat_workgroup_size: 120
    .name:           bluestein_single_back_len45_dim1_dp_op_CI_CI
    .private_segment_fixed_size: 0
    .sgpr_count:     17
    .sgpr_spill_count: 0
    .symbol:         bluestein_single_back_len45_dim1_dp_op_CI_CI.kd
    .uniform_work_group_size: 1
    .uses_dynamic_stack: false
    .vgpr_count:     98
    .vgpr_spill_count: 0
    .wavefront_size: 32
    .workgroup_processor_mode: 1
amdhsa.target:   amdgcn-amd-amdhsa--gfx1201
amdhsa.version:
  - 1
  - 2
...

	.end_amdgpu_metadata
